;; amdgpu-corpus repo=ROCm/rocFFT kind=compiled arch=gfx906 opt=O3
	.text
	.amdgcn_target "amdgcn-amd-amdhsa--gfx906"
	.amdhsa_code_object_version 6
	.protected	fft_rtc_back_len128_factors_16_8_wgs_256_tpt_16_sp_op_CI_CI_sbcc ; -- Begin function fft_rtc_back_len128_factors_16_8_wgs_256_tpt_16_sp_op_CI_CI_sbcc
	.globl	fft_rtc_back_len128_factors_16_8_wgs_256_tpt_16_sp_op_CI_CI_sbcc
	.p2align	8
	.type	fft_rtc_back_len128_factors_16_8_wgs_256_tpt_16_sp_op_CI_CI_sbcc,@function
fft_rtc_back_len128_factors_16_8_wgs_256_tpt_16_sp_op_CI_CI_sbcc: ; @fft_rtc_back_len128_factors_16_8_wgs_256_tpt_16_sp_op_CI_CI_sbcc
; %bb.0:
	s_load_dwordx4 s[0:3], s[4:5], 0x18
	s_load_dwordx2 s[26:27], s[4:5], 0x28
	s_mov_b32 s7, 0
	s_mov_b64 s[20:21], 0
	s_waitcnt lgkmcnt(0)
	s_load_dwordx2 s[24:25], s[0:1], 0x8
	s_waitcnt lgkmcnt(0)
	s_add_u32 s8, s24, -1
	s_addc_u32 s9, s25, -1
	s_lshr_b64 s[8:9], s[8:9], 4
	s_add_u32 s28, s8, 1
	s_addc_u32 s29, s9, 0
	v_mov_b32_e32 v1, s28
	v_mov_b32_e32 v2, s29
	v_cmp_lt_u64_e32 vcc, s[6:7], v[1:2]
	s_cbranch_vccnz .LBB0_2
; %bb.1:
	v_cvt_f32_u32_e32 v1, s28
	s_sub_i32 s8, 0, s28
	s_mov_b32 s21, s7
	v_rcp_iflag_f32_e32 v1, v1
	v_mul_f32_e32 v1, 0x4f7ffffe, v1
	v_cvt_u32_f32_e32 v1, v1
	v_readfirstlane_b32 s9, v1
	s_mul_i32 s8, s8, s9
	s_mul_hi_u32 s8, s9, s8
	s_add_i32 s9, s9, s8
	s_mul_hi_u32 s8, s6, s9
	s_mul_i32 s10, s8, s28
	s_sub_i32 s10, s6, s10
	s_add_i32 s9, s8, 1
	s_sub_i32 s11, s10, s28
	s_cmp_ge_u32 s10, s28
	s_cselect_b32 s8, s9, s8
	s_cselect_b32 s10, s11, s10
	s_add_i32 s9, s8, 1
	s_cmp_ge_u32 s10, s28
	s_cselect_b32 s20, s9, s8
.LBB0_2:
	s_mul_i32 s22, s20, s29
	s_mul_hi_u32 s23, s20, s28
	s_load_dwordx4 s[12:15], s[4:5], 0x60
	s_load_dwordx4 s[16:19], s[2:3], 0x0
	;; [unrolled: 1-line block ×3, first 2 shown]
	s_add_i32 s23, s23, s22
	s_mul_i32 s22, s20, s28
	s_sub_u32 s30, s6, s22
	s_subb_u32 s31, 0, s23
	v_mov_b32_e32 v1, s30
	v_alignbit_b32 v1, s31, v1, 28
	s_waitcnt lgkmcnt(0)
	v_mul_lo_u32 v2, s18, v1
	s_lshl_b64 s[30:31], s[30:31], 4
	s_load_dwordx2 s[22:23], s[4:5], 0x0
	s_load_dwordx2 s[34:35], s[4:5], 0x10
	s_mul_hi_u32 s4, s18, s30
	v_mul_lo_u32 v3, s10, v1
	v_add_u32_e32 v2, s4, v2
	s_mul_i32 s4, s19, s30
	v_add_u32_e32 v2, s4, v2
	s_mul_i32 s4, s18, s30
	v_mov_b32_e32 v1, s4
	s_mul_hi_u32 s4, s10, s30
	v_add_u32_e32 v3, s4, v3
	s_mul_i32 s4, s11, s30
	v_add_u32_e32 v29, s4, v3
	s_waitcnt lgkmcnt(0)
	v_cmp_lt_u64_e64 s[4:5], s[34:35], 3
	s_mul_i32 s33, s10, s30
	v_mov_b32_e32 v28, s33
	s_and_b64 vcc, exec, s[4:5]
	s_cbranch_vccnz .LBB0_11
; %bb.3:
	s_add_u32 s4, s26, 16
	s_addc_u32 s5, s27, 0
	s_add_u32 s36, s2, 16
	s_addc_u32 s37, s3, 0
	s_add_u32 s38, s0, 16
	v_mov_b32_e32 v3, s34
	s_addc_u32 s39, s1, 0
	s_mov_b64 s[40:41], 2
	s_mov_b32 s42, 0
	v_mov_b32_e32 v4, s35
	s_branch .LBB0_5
.LBB0_4:                                ;   in Loop: Header=BB0_5 Depth=1
	s_mul_i32 s29, s44, s29
	s_mul_hi_u32 s33, s44, s28
	s_add_i32 s29, s33, s29
	s_mul_i32 s33, s45, s28
	s_add_i32 s29, s29, s33
	s_mul_i32 s33, s0, s45
	s_mul_hi_u32 s43, s0, s44
	s_load_dwordx2 s[46:47], s[36:37], 0x0
	s_add_i32 s33, s43, s33
	s_mul_i32 s43, s1, s44
	s_add_i32 s33, s33, s43
	s_mul_i32 s43, s0, s44
	s_sub_u32 s43, s20, s43
	s_subb_u32 s33, s21, s33
	s_waitcnt lgkmcnt(0)
	s_mul_i32 s20, s46, s33
	s_mul_hi_u32 s21, s46, s43
	s_add_i32 s20, s21, s20
	s_mul_i32 s21, s47, s43
	s_add_i32 s20, s20, s21
	v_mov_b32_e32 v5, s20
	s_load_dwordx2 s[20:21], s[4:5], 0x0
	s_mul_i32 s28, s44, s28
	s_mul_i32 s44, s46, s43
	v_add_co_u32_e32 v1, vcc, s44, v1
	s_waitcnt lgkmcnt(0)
	s_mul_i32 s33, s20, s33
	s_mul_hi_u32 s44, s20, s43
	s_add_i32 s33, s44, s33
	s_mul_i32 s21, s21, s43
	s_add_i32 s21, s33, s21
	s_add_u32 s40, s40, 1
	s_addc_u32 s41, s41, 0
	v_addc_co_u32_e32 v2, vcc, v5, v2, vcc
	s_mul_i32 s20, s20, s43
	s_add_u32 s4, s4, 8
	v_mov_b32_e32 v5, s21
	v_add_co_u32_e32 v28, vcc, s20, v28
	s_addc_u32 s5, s5, 0
	v_addc_co_u32_e32 v29, vcc, v5, v29, vcc
	s_add_u32 s36, s36, 8
	s_addc_u32 s37, s37, 0
	v_cmp_ge_u64_e32 vcc, s[40:41], v[3:4]
	s_add_u32 s38, s38, 8
	s_addc_u32 s39, s39, 0
	s_mov_b64 s[20:21], s[0:1]
	s_cbranch_vccnz .LBB0_9
.LBB0_5:                                ; =>This Inner Loop Header: Depth=1
	s_load_dwordx2 s[44:45], s[38:39], 0x0
	s_waitcnt lgkmcnt(0)
	s_or_b64 s[0:1], s[20:21], s[44:45]
	s_mov_b32 s43, s1
	s_cmp_lg_u64 s[42:43], 0
	s_cbranch_scc0 .LBB0_7
; %bb.6:                                ;   in Loop: Header=BB0_5 Depth=1
	v_cvt_f32_u32_e32 v5, s44
	v_cvt_f32_u32_e32 v6, s45
	s_sub_u32 s0, 0, s44
	s_subb_u32 s1, 0, s45
	v_mac_f32_e32 v5, 0x4f800000, v6
	v_rcp_f32_e32 v5, v5
	v_mul_f32_e32 v5, 0x5f7ffffc, v5
	v_mul_f32_e32 v6, 0x2f800000, v5
	v_trunc_f32_e32 v6, v6
	v_mac_f32_e32 v5, 0xcf800000, v6
	v_cvt_u32_f32_e32 v6, v6
	v_cvt_u32_f32_e32 v5, v5
	v_readfirstlane_b32 s33, v6
	v_readfirstlane_b32 s43, v5
	s_mul_i32 s46, s0, s33
	s_mul_hi_u32 s48, s0, s43
	s_mul_i32 s47, s1, s43
	s_add_i32 s46, s48, s46
	s_mul_i32 s49, s0, s43
	s_add_i32 s46, s46, s47
	s_mul_hi_u32 s47, s43, s46
	s_mul_i32 s48, s43, s46
	s_mul_hi_u32 s43, s43, s49
	s_add_u32 s43, s43, s48
	s_addc_u32 s47, 0, s47
	s_mul_hi_u32 s50, s33, s49
	s_mul_i32 s49, s33, s49
	s_add_u32 s43, s43, s49
	s_mul_hi_u32 s48, s33, s46
	s_addc_u32 s43, s47, s50
	s_addc_u32 s47, s48, 0
	s_mul_i32 s46, s33, s46
	s_add_u32 s43, s43, s46
	s_addc_u32 s46, 0, s47
	v_add_co_u32_e32 v5, vcc, s43, v5
	s_cmp_lg_u64 vcc, 0
	s_addc_u32 s33, s33, s46
	v_readfirstlane_b32 s46, v5
	s_mul_i32 s43, s0, s33
	s_mul_hi_u32 s47, s0, s46
	s_add_i32 s43, s47, s43
	s_mul_i32 s1, s1, s46
	s_add_i32 s43, s43, s1
	s_mul_i32 s0, s0, s46
	s_mul_hi_u32 s47, s33, s0
	s_mul_i32 s48, s33, s0
	s_mul_i32 s50, s46, s43
	s_mul_hi_u32 s0, s46, s0
	s_mul_hi_u32 s49, s46, s43
	s_add_u32 s0, s0, s50
	s_addc_u32 s46, 0, s49
	s_add_u32 s0, s0, s48
	s_mul_hi_u32 s1, s33, s43
	s_addc_u32 s0, s46, s47
	s_addc_u32 s1, s1, 0
	s_mul_i32 s43, s33, s43
	s_add_u32 s0, s0, s43
	s_addc_u32 s1, 0, s1
	v_add_co_u32_e32 v5, vcc, s0, v5
	s_cmp_lg_u64 vcc, 0
	s_addc_u32 s0, s33, s1
	v_readfirstlane_b32 s43, v5
	s_mul_i32 s33, s20, s0
	s_mul_hi_u32 s46, s20, s43
	s_mul_hi_u32 s1, s20, s0
	s_add_u32 s33, s46, s33
	s_addc_u32 s1, 0, s1
	s_mul_hi_u32 s47, s21, s43
	s_mul_i32 s43, s21, s43
	s_add_u32 s33, s33, s43
	s_mul_hi_u32 s46, s21, s0
	s_addc_u32 s1, s1, s47
	s_addc_u32 s33, s46, 0
	s_mul_i32 s0, s21, s0
	s_add_u32 s43, s1, s0
	s_addc_u32 s33, 0, s33
	s_mul_i32 s0, s44, s33
	s_mul_hi_u32 s1, s44, s43
	s_add_i32 s0, s1, s0
	s_mul_i32 s1, s45, s43
	s_add_i32 s46, s0, s1
	s_mul_i32 s1, s44, s43
	v_mov_b32_e32 v5, s1
	s_sub_i32 s0, s21, s46
	v_sub_co_u32_e32 v5, vcc, s20, v5
	s_cmp_lg_u64 vcc, 0
	s_subb_u32 s47, s0, s45
	v_subrev_co_u32_e64 v6, s[0:1], s44, v5
	s_cmp_lg_u64 s[0:1], 0
	s_subb_u32 s0, s47, 0
	s_cmp_ge_u32 s0, s45
	v_readfirstlane_b32 s47, v6
	s_cselect_b32 s1, -1, 0
	s_cmp_ge_u32 s47, s44
	s_cselect_b32 s47, -1, 0
	s_cmp_eq_u32 s0, s45
	s_cselect_b32 s0, s47, s1
	s_add_u32 s1, s43, 1
	s_addc_u32 s47, s33, 0
	s_add_u32 s48, s43, 2
	s_addc_u32 s49, s33, 0
	s_cmp_lg_u32 s0, 0
	s_cselect_b32 s0, s48, s1
	s_cselect_b32 s1, s49, s47
	s_cmp_lg_u64 vcc, 0
	s_subb_u32 s46, s21, s46
	s_cmp_ge_u32 s46, s45
	v_readfirstlane_b32 s48, v5
	s_cselect_b32 s47, -1, 0
	s_cmp_ge_u32 s48, s44
	s_cselect_b32 s48, -1, 0
	s_cmp_eq_u32 s46, s45
	s_cselect_b32 s46, s48, s47
	s_cmp_lg_u32 s46, 0
	s_cselect_b32 s1, s1, s33
	s_cselect_b32 s0, s0, s43
	s_cbranch_execnz .LBB0_4
	s_branch .LBB0_8
.LBB0_7:                                ;   in Loop: Header=BB0_5 Depth=1
                                        ; implicit-def: $sgpr0_sgpr1
.LBB0_8:                                ;   in Loop: Header=BB0_5 Depth=1
	v_cvt_f32_u32_e32 v5, s44
	s_sub_i32 s0, 0, s44
	v_rcp_iflag_f32_e32 v5, v5
	v_mul_f32_e32 v5, 0x4f7ffffe, v5
	v_cvt_u32_f32_e32 v5, v5
	v_readfirstlane_b32 s1, v5
	s_mul_i32 s0, s0, s1
	s_mul_hi_u32 s0, s1, s0
	s_add_i32 s1, s1, s0
	s_mul_hi_u32 s0, s20, s1
	s_mul_i32 s33, s0, s44
	s_sub_i32 s33, s20, s33
	s_add_i32 s1, s0, 1
	s_sub_i32 s43, s33, s44
	s_cmp_ge_u32 s33, s44
	s_cselect_b32 s0, s1, s0
	s_cselect_b32 s33, s43, s33
	s_add_i32 s1, s0, 1
	s_cmp_ge_u32 s33, s44
	s_cselect_b32 s0, s1, s0
	s_mov_b32 s1, s42
	s_branch .LBB0_4
.LBB0_9:
	v_mov_b32_e32 v3, s28
	v_mov_b32_e32 v4, s29
	v_cmp_lt_u64_e32 vcc, s[6:7], v[3:4]
	s_mov_b64 s[20:21], 0
	s_cbranch_vccnz .LBB0_11
; %bb.10:
	v_cvt_f32_u32_e32 v3, s28
	s_sub_i32 s0, 0, s28
	v_rcp_iflag_f32_e32 v3, v3
	v_mul_f32_e32 v3, 0x4f7ffffe, v3
	v_cvt_u32_f32_e32 v3, v3
	v_readfirstlane_b32 s1, v3
	s_mul_i32 s0, s0, s1
	s_mul_hi_u32 s0, s1, s0
	s_add_i32 s1, s1, s0
	s_mul_hi_u32 s0, s6, s1
	s_mul_i32 s4, s0, s28
	s_sub_i32 s4, s6, s4
	s_add_i32 s1, s0, 1
	s_sub_i32 s5, s4, s28
	s_cmp_ge_u32 s4, s28
	s_cselect_b32 s0, s1, s0
	s_cselect_b32 s4, s5, s4
	s_add_i32 s1, s0, 1
	s_cmp_ge_u32 s4, s28
	s_cselect_b32 s20, s1, s0
.LBB0_11:
	s_lshl_b64 s[28:29], s[34:35], 3
	s_add_u32 s4, s26, s28
	s_addc_u32 s5, s27, s29
	s_add_u32 s0, s30, 16
	v_mov_b32_e32 v3, s24
	s_addc_u32 s1, s31, 0
	v_mov_b32_e32 v4, s25
	v_and_b32_e32 v42, 15, v0
	v_cmp_le_u64_e32 vcc, s[0:1], v[3:4]
	v_or_b32_e32 v3, s30, v42
	v_mov_b32_e32 v4, s31
	v_cmp_gt_u64_e64 s[0:1], s[24:25], v[3:4]
	v_lshrrev_b32_e32 v34, 4, v0
	s_or_b64 s[0:1], vcc, s[0:1]
	v_lshlrev_b32_e32 v38, 7, v42
	v_add_u32_e32 v41, 16, v34
	v_add_u32_e32 v37, 32, v34
	;; [unrolled: 1-line block ×3, first 2 shown]
	v_or_b32_e32 v35, 64, v34
	v_lshlrev_b32_e32 v39, 10, v42
	v_lshlrev_b32_e32 v40, 3, v34
	s_and_saveexec_b64 s[6:7], s[0:1]
	s_cbranch_execz .LBB0_13
; %bb.12:
	s_add_u32 s2, s2, s28
	s_addc_u32 s3, s3, s29
	s_load_dwordx2 s[2:3], s[2:3], 0x0
	v_mad_u64_u32 v[3:4], s[24:25], s18, v42, 0
	v_mad_u64_u32 v[5:6], s[24:25], s16, v34, 0
	s_waitcnt lgkmcnt(0)
	s_mul_i32 s3, s3, s20
	s_mul_hi_u32 s21, s2, s20
	v_mov_b32_e32 v0, v4
	v_mad_u64_u32 v[7:8], s[18:19], s19, v42, v[0:1]
	v_mov_b32_e32 v0, v6
	s_add_i32 s3, s21, s3
	s_mul_i32 s2, s2, s20
	v_mad_u64_u32 v[8:9], s[18:19], s17, v34, v[0:1]
	s_lshl_b64 s[2:3], s[2:3], 3
	s_add_u32 s2, s12, s2
	v_lshlrev_b64 v[0:1], 3, v[1:2]
	s_addc_u32 s3, s13, s3
	v_mov_b32_e32 v4, v7
	v_mov_b32_e32 v2, s3
	v_add_co_u32_e32 v7, vcc, s2, v0
	v_mov_b32_e32 v6, v8
	v_addc_co_u32_e32 v8, vcc, v2, v1, vcc
	v_lshlrev_b64 v[0:1], 3, v[3:4]
	v_mad_u64_u32 v[2:3], s[2:3], s16, v41, 0
	v_add_co_u32_e32 v20, vcc, v7, v0
	v_mad_u64_u32 v[3:4], s[2:3], s17, v41, v[3:4]
	v_addc_co_u32_e32 v21, vcc, v8, v1, vcc
	v_lshlrev_b64 v[0:1], 3, v[5:6]
	v_mad_u64_u32 v[4:5], s[2:3], s16, v37, 0
	v_add_co_u32_e32 v0, vcc, v20, v0
	v_mad_u64_u32 v[5:6], s[2:3], s17, v37, v[5:6]
	v_mad_u64_u32 v[6:7], s[2:3], s16, v36, 0
	v_lshlrev_b64 v[2:3], 3, v[2:3]
	v_addc_co_u32_e32 v1, vcc, v21, v1, vcc
	v_mad_u64_u32 v[7:8], s[2:3], s17, v36, v[7:8]
	v_mad_u64_u32 v[8:9], s[2:3], s16, v35, 0
	v_add_co_u32_e32 v2, vcc, v20, v2
	v_lshlrev_b64 v[4:5], 3, v[4:5]
	v_mad_u64_u32 v[9:10], s[2:3], s17, v35, v[9:10]
	v_add_u32_e32 v22, 0x50, v34
	v_addc_co_u32_e32 v3, vcc, v21, v3, vcc
	v_mad_u64_u32 v[10:11], s[2:3], s16, v22, 0
	v_add_co_u32_e32 v4, vcc, v20, v4
	v_lshlrev_b64 v[6:7], 3, v[6:7]
	v_addc_co_u32_e32 v5, vcc, v21, v5, vcc
	v_add_co_u32_e32 v6, vcc, v20, v6
	v_addc_co_u32_e32 v7, vcc, v21, v7, vcc
	global_load_dwordx2 v[12:13], v[0:1], off
	global_load_dwordx2 v[14:15], v[2:3], off
	;; [unrolled: 1-line block ×4, first 2 shown]
	v_mov_b32_e32 v2, v11
	v_mad_u64_u32 v[2:3], s[2:3], s17, v22, v[2:3]
	v_add_u32_e32 v7, 0x60, v34
	v_mad_u64_u32 v[3:4], s[2:3], s16, v7, 0
	v_mov_b32_e32 v11, v2
	v_lshlrev_b64 v[0:1], 3, v[8:9]
	v_mov_b32_e32 v2, v4
	v_lshlrev_b64 v[5:6], 3, v[10:11]
	v_mad_u64_u32 v[7:8], s[2:3], s17, v7, v[2:3]
	v_add_u32_e32 v10, 0x70, v34
	v_mad_u64_u32 v[8:9], s[2:3], s16, v10, 0
	v_add_co_u32_e32 v0, vcc, v20, v0
	v_addc_co_u32_e32 v1, vcc, v21, v1, vcc
	v_mov_b32_e32 v4, v7
	v_add_co_u32_e32 v5, vcc, v20, v5
	v_lshlrev_b64 v[2:3], 3, v[3:4]
	v_mov_b32_e32 v4, v9
	v_mad_u64_u32 v[9:10], s[2:3], s17, v10, v[4:5]
	v_addc_co_u32_e32 v6, vcc, v21, v6, vcc
	v_add_co_u32_e32 v2, vcc, v20, v2
	v_lshlrev_b64 v[7:8], 3, v[8:9]
	v_addc_co_u32_e32 v3, vcc, v21, v3, vcc
	v_add_co_u32_e32 v7, vcc, v20, v7
	v_addc_co_u32_e32 v8, vcc, v21, v8, vcc
	global_load_dwordx2 v[9:10], v[0:1], off
	global_load_dwordx2 v[20:21], v[5:6], off
	;; [unrolled: 1-line block ×4, first 2 shown]
	v_or_b32_e32 v0, v38, v34
	v_lshl_add_u32 v0, v0, 3, 0
	s_waitcnt vmcnt(7)
	ds_write_b64 v0, v[12:13]
	v_add_u32_e32 v0, v38, v34
	v_lshl_add_u32 v0, v0, 3, 0
	s_waitcnt vmcnt(5)
	ds_write2_b64 v0, v[14:15], v[16:17] offset0:16 offset1:32
	s_waitcnt vmcnt(3)
	ds_write2_b64 v0, v[18:19], v[9:10] offset0:48 offset1:64
	v_add3_u32 v0, 0, v39, v40
	s_waitcnt vmcnt(1)
	ds_write2_b64 v0, v[20:21], v[22:23] offset0:80 offset1:96
	s_waitcnt vmcnt(0)
	ds_write_b64 v0, v[24:25] offset:896
.LBB0_13:
	s_or_b64 exec, exec, s[6:7]
	v_lshlrev_b32_e32 v0, 7, v34
	v_and_b32_e32 v0, 0x780, v0
	v_lshlrev_b32_e32 v45, 3, v0
	v_lshlrev_b32_e32 v0, 3, v42
	v_add_u32_e32 v46, 0, v0
	v_add_u32_e32 v43, v46, v45
	s_waitcnt lgkmcnt(0)
	s_barrier
	v_add3_u32 v44, 0, v45, v0
	ds_read2_b64 v[4:7], v43 offset0:8 offset1:16
	ds_read2_b64 v[0:3], v43 offset0:24 offset1:32
	;; [unrolled: 1-line block ×4, first 2 shown]
	ds_read_b64 v[30:31], v44
	ds_read_b64 v[32:33], v43 offset:960
	ds_read2_b64 v[20:23], v43 offset0:72 offset1:80
	ds_read2_b64 v[16:19], v43 offset0:88 offset1:96
	;; [unrolled: 1-line block ×3, first 2 shown]
	v_cmp_gt_u32_e32 vcc, 8, v42
	s_waitcnt lgkmcnt(0)
	s_barrier
	s_and_saveexec_b64 s[2:3], vcc
	s_cbranch_execz .LBB0_15
; %bb.14:
	v_sub_f32_e32 v18, v2, v18
	v_sub_f32_e32 v11, v31, v11
	;; [unrolled: 1-line block ×9, first 2 shown]
	v_fma_f32 v47, v9, 2.0, -v33
	v_sub_f32_e32 v9, v30, v10
	v_fma_f32 v51, v2, 2.0, -v18
	v_sub_f32_e32 v2, v11, v18
	v_sub_f32_e32 v27, v15, v27
	;; [unrolled: 1-line block ×5, first 2 shown]
	v_fma_f32 v10, v5, 2.0, -v21
	v_fma_f32 v48, v4, 2.0, -v20
	;; [unrolled: 1-line block ×4, first 2 shown]
	v_sub_f32_e32 v0, v23, v26
	v_mov_b32_e32 v3, v2
	v_add_f32_e32 v19, v9, v19
	v_sub_f32_e32 v24, v12, v24
	v_fma_f32 v15, v15, 2.0, -v27
	v_fma_f32 v13, v13, 2.0, -v25
	;; [unrolled: 1-line block ×3, first 2 shown]
	v_fmac_f32_e32 v3, 0x3f3504f3, v0
	v_add_f32_e32 v1, v22, v27
	v_mov_b32_e32 v27, v19
	v_add_f32_e32 v25, v20, v25
	v_fma_f32 v14, v14, 2.0, -v26
	v_sub_f32_e32 v32, v8, v32
	v_fma_f32 v6, v6, 2.0, -v22
	v_fmac_f32_e32 v3, 0xbf3504f3, v1
	v_sub_f32_e32 v18, v21, v24
	v_fma_f32 v26, v30, 2.0, -v9
	v_fmac_f32_e32 v27, 0x3f3504f3, v1
	v_add_f32_e32 v30, v16, v33
	v_fma_f32 v1, v22, 2.0, -v1
	v_mov_b32_e32 v22, v25
	v_fma_f32 v49, v7, 2.0, -v23
	v_sub_f32_e32 v7, v17, v32
	v_fmac_f32_e32 v27, 0x3f3504f3, v0
	v_fma_f32 v0, v23, 2.0, -v0
	v_mov_b32_e32 v23, v18
	v_fmac_f32_e32 v22, 0x3f3504f3, v30
	v_fma_f32 v21, v21, 2.0, -v18
	v_fma_f32 v52, v9, 2.0, -v19
	v_fma_f32 v12, v12, 2.0, -v24
	v_fma_f32 v8, v8, 2.0, -v32
	v_fma_f32 v24, v31, 2.0, -v11
	v_fmac_f32_e32 v23, 0x3f3504f3, v7
	v_fmac_f32_e32 v22, 0x3f3504f3, v7
	v_fma_f32 v31, v11, 2.0, -v2
	v_fma_f32 v7, v17, 2.0, -v7
	v_mov_b32_e32 v32, v21
	v_fma_f32 v20, v20, 2.0, -v25
	v_mov_b32_e32 v53, v52
	v_fmac_f32_e32 v23, 0xbf3504f3, v30
	v_fmac_f32_e32 v32, 0xbf3504f3, v7
	v_fma_f32 v11, v16, 2.0, -v30
	v_mov_b32_e32 v30, v20
	v_mov_b32_e32 v33, v31
	v_fmac_f32_e32 v53, 0xbf3504f3, v1
	v_fmac_f32_e32 v32, 0xbf3504f3, v11
	;; [unrolled: 1-line block ×5, first 2 shown]
	v_mov_b32_e32 v0, v27
	v_sub_f32_e32 v11, v24, v4
	v_sub_f32_e32 v4, v6, v14
	v_fmac_f32_e32 v33, 0xbf3504f3, v1
	v_mov_b32_e32 v1, v3
	v_fmac_f32_e32 v0, 0x3f6c835e, v22
	v_fma_f32 v54, v6, 2.0, -v4
	v_sub_f32_e32 v14, v11, v4
	v_sub_f32_e32 v13, v10, v13
	;; [unrolled: 1-line block ×3, first 2 shown]
	v_fma_f32 v8, v19, 2.0, -v27
	v_fmac_f32_e32 v30, 0x3f3504f3, v7
	v_fmac_f32_e32 v1, 0x3f6c835e, v23
	;; [unrolled: 1-line block ×3, first 2 shown]
	v_fma_f32 v7, v2, 2.0, -v3
	v_fma_f32 v9, v18, 2.0, -v23
	v_fma_f32 v23, v5, 2.0, -v4
	v_sub_f32_e32 v16, v13, v4
	v_fma_f32 v6, v25, 2.0, -v22
	v_mov_b32_e32 v4, v8
	v_mov_b32_e32 v5, v7
	v_fmac_f32_e32 v4, 0xbec3ef15, v6
	v_fmac_f32_e32 v5, 0xbec3ef15, v9
	;; [unrolled: 1-line block ×4, first 2 shown]
	v_fma_f32 v6, v8, 2.0, -v4
	v_sub_f32_e32 v8, v50, v47
	v_sub_f32_e32 v12, v48, v12
	v_fma_f32 v2, v27, 2.0, -v0
	v_mov_b32_e32 v9, v14
	v_fma_f32 v27, v50, 2.0, -v8
	v_add_f32_e32 v17, v12, v8
	v_sub_f32_e32 v8, v49, v15
	v_sub_f32_e32 v15, v26, v51
	v_fmac_f32_e32 v9, 0x3f3504f3, v16
	v_add_f32_e32 v18, v15, v8
	v_fmac_f32_e32 v1, 0xbec3ef15, v22
	v_fmac_f32_e32 v9, 0xbf3504f3, v17
	v_fma_f32 v22, v49, 2.0, -v8
	v_mov_b32_e32 v8, v18
	v_fmac_f32_e32 v8, 0x3f3504f3, v17
	v_fma_f32 v47, v24, 2.0, -v11
	v_fma_f32 v19, v11, 2.0, -v14
	;; [unrolled: 1-line block ×6, first 2 shown]
	v_mov_b32_e32 v12, v17
	v_fmac_f32_e32 v8, 0x3f3504f3, v16
	v_fma_f32 v49, v10, 2.0, -v13
	v_fma_f32 v16, v13, 2.0, -v16
	v_mov_b32_e32 v13, v19
	v_fmac_f32_e32 v12, 0xbf3504f3, v14
	v_fmac_f32_e32 v13, 0xbf3504f3, v16
	;; [unrolled: 1-line block ×4, first 2 shown]
	v_fma_f32 v14, v17, 2.0, -v12
	v_mov_b32_e32 v17, v33
	v_fmac_f32_e32 v17, 0x3ec3ef15, v32
	v_mov_b32_e32 v16, v53
	v_fma_f32 v50, v26, 2.0, -v15
	v_fmac_f32_e32 v17, 0xbf6c835e, v30
	v_fmac_f32_e32 v16, 0x3ec3ef15, v30
	v_sub_f32_e32 v26, v47, v22
	v_fma_f32 v22, v20, 2.0, -v30
	v_fma_f32 v30, v52, 2.0, -v53
	;; [unrolled: 1-line block ×3, first 2 shown]
	v_mov_b32_e32 v20, v30
	v_fma_f32 v25, v21, 2.0, -v32
	v_mov_b32_e32 v21, v24
	v_fmac_f32_e32 v20, 0xbf6c835e, v22
	v_fmac_f32_e32 v21, 0xbf6c835e, v25
	;; [unrolled: 1-line block ×4, first 2 shown]
	v_sub_f32_e32 v32, v48, v23
	v_fmac_f32_e32 v21, 0xbec3ef15, v22
	v_fma_f32 v22, v30, 2.0, -v20
	v_sub_f32_e32 v30, v50, v54
	v_sub_f32_e32 v27, v49, v27
	v_fma_f32 v23, v24, 2.0, -v21
	v_sub_f32_e32 v25, v26, v32
	v_add_f32_e32 v24, v30, v27
	v_fma_f32 v15, v19, 2.0, -v13
	v_fma_f32 v19, v33, 2.0, -v17
	;; [unrolled: 1-line block ×8, first 2 shown]
	v_sub_f32_e32 v30, v47, v30
	v_sub_f32_e32 v31, v33, v31
	v_fma_f32 v32, v47, 2.0, -v30
	v_mul_u32_u24_e32 v47, 0x78, v42
	v_fma_f32 v33, v33, 2.0, -v31
	v_add3_u32 v45, v46, v47, v45
	v_fma_f32 v3, v3, 2.0, -v1
	v_fma_f32 v7, v7, 2.0, -v5
	;; [unrolled: 1-line block ×4, first 2 shown]
	ds_write2_b64 v45, v[32:33], v[22:23] offset1:1
	ds_write2_b64 v45, v[14:15], v[6:7] offset0:2 offset1:3
	ds_write2_b64 v45, v[26:27], v[18:19] offset0:4 offset1:5
	;; [unrolled: 1-line block ×7, first 2 shown]
.LBB0_15:
	s_or_b64 exec, exec, s[2:3]
	v_mul_u32_u24_e32 v0, 7, v42
	v_lshlrev_b32_e32 v12, 3, v0
	s_load_dwordx2 s[2:3], s[4:5], 0x0
	s_waitcnt lgkmcnt(0)
	s_barrier
	global_load_dwordx4 v[0:3], v12, s[22:23]
	global_load_dwordx4 v[4:7], v12, s[22:23] offset:16
	global_load_dwordx4 v[8:11], v12, s[22:23] offset:32
	global_load_dwordx2 v[20:21], v12, s[22:23] offset:48
	ds_read2_b64 v[12:15], v43 offset0:16 offset1:32
	ds_read2_b64 v[16:19], v43 offset0:48 offset1:64
	ds_read_b64 v[22:23], v44
	ds_read_b64 v[24:25], v43 offset:640
	ds_read2_b32 v[26:27], v43 offset0:192 offset1:193
	ds_read_b64 v[30:31], v43 offset:896
	s_waitcnt vmcnt(0) lgkmcnt(0)
	s_barrier
	v_mul_f32_e32 v32, v1, v13
	v_mul_f32_e32 v1, v1, v12
	;; [unrolled: 1-line block ×14, first 2 shown]
	v_fmac_f32_e32 v32, v0, v12
	v_fma_f32 v0, v0, v13, -v1
	v_fmac_f32_e32 v33, v2, v14
	v_fma_f32 v1, v2, v15, -v3
	;; [unrolled: 2-line block ×4, first 2 shown]
	v_fma_f32 v4, v8, v25, -v9
	v_fma_f32 v5, v27, v10, -v11
	;; [unrolled: 1-line block ×3, first 2 shown]
	v_fmac_f32_e32 v46, v8, v24
	v_fmac_f32_e32 v47, v10, v26
	v_sub_f32_e32 v7, v22, v45
	v_sub_f32_e32 v5, v1, v5
	;; [unrolled: 1-line block ×4, first 2 shown]
	v_fmac_f32_e32 v48, v30, v20
	v_sub_f32_e32 v3, v23, v3
	v_sub_f32_e32 v8, v33, v47
	;; [unrolled: 1-line block ×3, first 2 shown]
	v_fma_f32 v0, v0, 2.0, -v4
	v_fma_f32 v2, v2, 2.0, -v6
	v_add_f32_e32 v16, v7, v5
	v_sub_f32_e32 v10, v44, v48
	v_fma_f32 v11, v22, 2.0, -v7
	v_sub_f32_e32 v17, v3, v8
	v_add_f32_e32 v18, v9, v6
	v_fma_f32 v7, v7, 2.0, -v16
	v_sub_f32_e32 v2, v0, v2
	v_fma_f32 v12, v23, 2.0, -v3
	v_fma_f32 v13, v33, 2.0, -v8
	;; [unrolled: 1-line block ×5, first 2 shown]
	v_sub_f32_e32 v19, v4, v10
	v_fma_f32 v20, v3, 2.0, -v17
	v_fma_f32 v10, v9, 2.0, -v18
	v_fma_f32 v5, v0, 2.0, -v2
	v_mov_b32_e32 v0, v7
	v_sub_f32_e32 v6, v11, v13
	v_sub_f32_e32 v13, v12, v1
	;; [unrolled: 1-line block ×3, first 2 shown]
	v_fma_f32 v15, v4, 2.0, -v19
	v_mov_b32_e32 v1, v20
	v_fmac_f32_e32 v0, 0xbf3504f3, v10
	v_fma_f32 v4, v14, 2.0, -v3
	v_sub_f32_e32 v3, v13, v3
	v_fmac_f32_e32 v1, 0xbf3504f3, v15
	v_fmac_f32_e32 v0, 0x3f3504f3, v15
	v_fma_f32 v8, v11, 2.0, -v6
	v_fma_f32 v9, v12, 2.0, -v13
	v_fmac_f32_e32 v1, 0xbf3504f3, v10
	v_fma_f32 v10, v7, 2.0, -v0
	v_fma_f32 v7, v13, 2.0, -v3
	v_mov_b32_e32 v12, v16
	v_mov_b32_e32 v13, v17
	v_sub_f32_e32 v4, v8, v4
	v_sub_f32_e32 v5, v9, v5
	v_fmac_f32_e32 v12, 0x3f3504f3, v18
	v_fmac_f32_e32 v13, 0x3f3504f3, v19
	v_add_f32_e32 v2, v6, v2
	v_fma_f32 v8, v8, 2.0, -v4
	v_fma_f32 v9, v9, 2.0, -v5
	;; [unrolled: 1-line block ×3, first 2 shown]
	v_fmac_f32_e32 v12, 0x3f3504f3, v19
	v_fmac_f32_e32 v13, 0xbf3504f3, v18
	v_fma_f32 v6, v6, 2.0, -v2
	v_fma_f32 v14, v16, 2.0, -v12
	;; [unrolled: 1-line block ×3, first 2 shown]
	ds_write2_b64 v43, v[8:9], v[10:11] offset1:16
	ds_write2_b64 v43, v[6:7], v[14:15] offset0:32 offset1:48
	ds_write2_b64 v43, v[4:5], v[0:1] offset0:64 offset1:80
	;; [unrolled: 1-line block ×3, first 2 shown]
	s_waitcnt lgkmcnt(0)
	s_barrier
	s_and_saveexec_b64 s[4:5], s[0:1]
	s_cbranch_execz .LBB0_17
; %bb.16:
	v_mad_u64_u32 v[0:1], s[0:1], s10, v42, 0
	v_mad_u64_u32 v[2:3], s[0:1], s8, v34, 0
	s_mul_i32 s3, s3, s20
	s_mul_hi_u32 s4, s2, s20
	v_mad_u64_u32 v[4:5], s[0:1], s11, v42, v[1:2]
	v_mov_b32_e32 v1, v3
	v_mad_u64_u32 v[5:6], s[0:1], s9, v34, v[1:2]
	s_add_i32 s1, s4, s3
	s_mul_i32 s0, s2, s20
	v_mov_b32_e32 v1, v4
	v_or_b32_e32 v4, v38, v34
	s_lshl_b64 s[0:1], s[0:1], 3
	v_mov_b32_e32 v3, v5
	v_lshl_add_u32 v6, v4, 3, 0
	s_add_u32 s0, s14, s0
	v_lshlrev_b64 v[4:5], 3, v[28:29]
	s_addc_u32 s1, s15, s1
	v_mov_b32_e32 v7, s1
	v_add_co_u32_e32 v4, vcc, s0, v4
	v_lshlrev_b64 v[0:1], 3, v[0:1]
	v_addc_co_u32_e32 v5, vcc, v7, v5, vcc
	v_add_co_u32_e32 v13, vcc, v4, v0
	v_addc_co_u32_e32 v14, vcc, v5, v1, vcc
	v_mad_u64_u32 v[4:5], s[0:1], s8, v41, 0
	v_lshlrev_b64 v[0:1], 3, v[2:3]
	v_add3_u32 v15, 0, v39, v40
	v_mov_b32_e32 v2, v5
	ds_read_b64 v[5:6], v6
	ds_read_b64 v[7:8], v15 offset:896
	v_mad_u64_u32 v[9:10], s[0:1], s8, v37, 0
	v_add_co_u32_e32 v0, vcc, v13, v0
	v_mad_u64_u32 v[2:3], s[0:1], s9, v41, v[2:3]
	v_addc_co_u32_e32 v1, vcc, v14, v1, vcc
	s_waitcnt lgkmcnt(1)
	global_store_dwordx2 v[0:1], v[5:6], off
	v_add_u32_e32 v0, v38, v34
	v_lshl_add_u32 v16, v0, 3, 0
	v_mov_b32_e32 v6, v10
	v_mov_b32_e32 v5, v2
	ds_read2_b64 v[0:3], v16 offset0:16 offset1:32
	s_waitcnt lgkmcnt(1)
	v_mad_u64_u32 v[10:11], s[0:1], s9, v37, v[6:7]
	v_lshlrev_b64 v[4:5], 3, v[4:5]
	v_mad_u64_u32 v[11:12], s[0:1], s8, v36, 0
	v_add_co_u32_e32 v4, vcc, v13, v4
	v_addc_co_u32_e32 v5, vcc, v14, v5, vcc
	s_waitcnt lgkmcnt(0)
	global_store_dwordx2 v[4:5], v[0:1], off
	v_mov_b32_e32 v4, v12
	v_lshlrev_b64 v[0:1], 3, v[9:10]
	v_mad_u64_u32 v[4:5], s[0:1], s9, v36, v[4:5]
	v_mad_u64_u32 v[9:10], s[0:1], s8, v35, 0
	v_add_co_u32_e32 v0, vcc, v13, v0
	v_addc_co_u32_e32 v1, vcc, v14, v1, vcc
	v_mov_b32_e32 v12, v4
	v_mov_b32_e32 v6, v10
	global_store_dwordx2 v[0:1], v[2:3], off
	ds_read2_b64 v[0:3], v16 offset0:48 offset1:64
	v_lshlrev_b64 v[4:5], 3, v[11:12]
	v_mad_u64_u32 v[10:11], s[0:1], s9, v35, v[6:7]
	v_add_u32_e32 v6, 0x50, v34
	v_mad_u64_u32 v[11:12], s[0:1], s8, v6, 0
	v_add_co_u32_e32 v4, vcc, v13, v4
	v_addc_co_u32_e32 v5, vcc, v14, v5, vcc
	s_waitcnt lgkmcnt(0)
	global_store_dwordx2 v[4:5], v[0:1], off
	v_mov_b32_e32 v4, v12
	v_mad_u64_u32 v[4:5], s[0:1], s9, v6, v[4:5]
	v_lshlrev_b64 v[0:1], 3, v[9:10]
	v_mov_b32_e32 v12, v4
	v_lshlrev_b64 v[4:5], 3, v[11:12]
	v_add_u32_e32 v11, 0x60, v34
	v_mad_u64_u32 v[9:10], s[0:1], s8, v11, 0
	v_add_co_u32_e32 v0, vcc, v13, v0
	v_addc_co_u32_e32 v1, vcc, v14, v1, vcc
	v_mov_b32_e32 v6, v10
	global_store_dwordx2 v[0:1], v[2:3], off
	ds_read2_b64 v[0:3], v15 offset0:80 offset1:96
	v_mad_u64_u32 v[10:11], s[0:1], s9, v11, v[6:7]
	v_add_u32_e32 v6, 0x70, v34
	v_mad_u64_u32 v[11:12], s[0:1], s8, v6, 0
	v_add_co_u32_e32 v4, vcc, v13, v4
	v_addc_co_u32_e32 v5, vcc, v14, v5, vcc
	s_waitcnt lgkmcnt(0)
	global_store_dwordx2 v[4:5], v[0:1], off
	v_mov_b32_e32 v4, v12
	v_mad_u64_u32 v[4:5], s[0:1], s9, v6, v[4:5]
	v_lshlrev_b64 v[0:1], 3, v[9:10]
	v_add_co_u32_e32 v0, vcc, v13, v0
	v_addc_co_u32_e32 v1, vcc, v14, v1, vcc
	v_mov_b32_e32 v12, v4
	global_store_dwordx2 v[0:1], v[2:3], off
	v_lshlrev_b64 v[0:1], 3, v[11:12]
	v_add_co_u32_e32 v0, vcc, v13, v0
	v_addc_co_u32_e32 v1, vcc, v14, v1, vcc
	global_store_dwordx2 v[0:1], v[7:8], off
.LBB0_17:
	s_endpgm
	.section	.rodata,"a",@progbits
	.p2align	6, 0x0
	.amdhsa_kernel fft_rtc_back_len128_factors_16_8_wgs_256_tpt_16_sp_op_CI_CI_sbcc
		.amdhsa_group_segment_fixed_size 0
		.amdhsa_private_segment_fixed_size 0
		.amdhsa_kernarg_size 112
		.amdhsa_user_sgpr_count 6
		.amdhsa_user_sgpr_private_segment_buffer 1
		.amdhsa_user_sgpr_dispatch_ptr 0
		.amdhsa_user_sgpr_queue_ptr 0
		.amdhsa_user_sgpr_kernarg_segment_ptr 1
		.amdhsa_user_sgpr_dispatch_id 0
		.amdhsa_user_sgpr_flat_scratch_init 0
		.amdhsa_user_sgpr_private_segment_size 0
		.amdhsa_uses_dynamic_stack 0
		.amdhsa_system_sgpr_private_segment_wavefront_offset 0
		.amdhsa_system_sgpr_workgroup_id_x 1
		.amdhsa_system_sgpr_workgroup_id_y 0
		.amdhsa_system_sgpr_workgroup_id_z 0
		.amdhsa_system_sgpr_workgroup_info 0
		.amdhsa_system_vgpr_workitem_id 0
		.amdhsa_next_free_vgpr 55
		.amdhsa_next_free_sgpr 51
		.amdhsa_reserve_vcc 1
		.amdhsa_reserve_flat_scratch 0
		.amdhsa_float_round_mode_32 0
		.amdhsa_float_round_mode_16_64 0
		.amdhsa_float_denorm_mode_32 3
		.amdhsa_float_denorm_mode_16_64 3
		.amdhsa_dx10_clamp 1
		.amdhsa_ieee_mode 1
		.amdhsa_fp16_overflow 0
		.amdhsa_exception_fp_ieee_invalid_op 0
		.amdhsa_exception_fp_denorm_src 0
		.amdhsa_exception_fp_ieee_div_zero 0
		.amdhsa_exception_fp_ieee_overflow 0
		.amdhsa_exception_fp_ieee_underflow 0
		.amdhsa_exception_fp_ieee_inexact 0
		.amdhsa_exception_int_div_zero 0
	.end_amdhsa_kernel
	.text
.Lfunc_end0:
	.size	fft_rtc_back_len128_factors_16_8_wgs_256_tpt_16_sp_op_CI_CI_sbcc, .Lfunc_end0-fft_rtc_back_len128_factors_16_8_wgs_256_tpt_16_sp_op_CI_CI_sbcc
                                        ; -- End function
	.section	.AMDGPU.csdata,"",@progbits
; Kernel info:
; codeLenInByte = 4496
; NumSgprs: 55
; NumVgprs: 55
; ScratchSize: 0
; MemoryBound: 0
; FloatMode: 240
; IeeeMode: 1
; LDSByteSize: 0 bytes/workgroup (compile time only)
; SGPRBlocks: 6
; VGPRBlocks: 13
; NumSGPRsForWavesPerEU: 55
; NumVGPRsForWavesPerEU: 55
; Occupancy: 4
; WaveLimiterHint : 1
; COMPUTE_PGM_RSRC2:SCRATCH_EN: 0
; COMPUTE_PGM_RSRC2:USER_SGPR: 6
; COMPUTE_PGM_RSRC2:TRAP_HANDLER: 0
; COMPUTE_PGM_RSRC2:TGID_X_EN: 1
; COMPUTE_PGM_RSRC2:TGID_Y_EN: 0
; COMPUTE_PGM_RSRC2:TGID_Z_EN: 0
; COMPUTE_PGM_RSRC2:TIDIG_COMP_CNT: 0
	.type	__hip_cuid_1f53f53dbad24437,@object ; @__hip_cuid_1f53f53dbad24437
	.section	.bss,"aw",@nobits
	.globl	__hip_cuid_1f53f53dbad24437
__hip_cuid_1f53f53dbad24437:
	.byte	0                               ; 0x0
	.size	__hip_cuid_1f53f53dbad24437, 1

	.ident	"AMD clang version 19.0.0git (https://github.com/RadeonOpenCompute/llvm-project roc-6.4.0 25133 c7fe45cf4b819c5991fe208aaa96edf142730f1d)"
	.section	".note.GNU-stack","",@progbits
	.addrsig
	.addrsig_sym __hip_cuid_1f53f53dbad24437
	.amdgpu_metadata
---
amdhsa.kernels:
  - .args:
      - .actual_access:  read_only
        .address_space:  global
        .offset:         0
        .size:           8
        .value_kind:     global_buffer
      - .address_space:  global
        .offset:         8
        .size:           8
        .value_kind:     global_buffer
      - .offset:         16
        .size:           8
        .value_kind:     by_value
      - .actual_access:  read_only
        .address_space:  global
        .offset:         24
        .size:           8
        .value_kind:     global_buffer
      - .actual_access:  read_only
        .address_space:  global
        .offset:         32
        .size:           8
        .value_kind:     global_buffer
      - .actual_access:  read_only
        .address_space:  global
        .offset:         40
        .size:           8
        .value_kind:     global_buffer
      - .offset:         48
        .size:           8
        .value_kind:     by_value
      - .actual_access:  read_only
        .address_space:  global
        .offset:         56
        .size:           8
        .value_kind:     global_buffer
      - .actual_access:  read_only
        .address_space:  global
        .offset:         64
        .size:           8
        .value_kind:     global_buffer
      - .offset:         72
        .size:           4
        .value_kind:     by_value
      - .actual_access:  read_only
        .address_space:  global
        .offset:         80
        .size:           8
        .value_kind:     global_buffer
      - .actual_access:  read_only
        .address_space:  global
        .offset:         88
        .size:           8
        .value_kind:     global_buffer
      - .actual_access:  read_only
        .address_space:  global
        .offset:         96
        .size:           8
        .value_kind:     global_buffer
      - .actual_access:  write_only
        .address_space:  global
        .offset:         104
        .size:           8
        .value_kind:     global_buffer
    .group_segment_fixed_size: 0
    .kernarg_segment_align: 8
    .kernarg_segment_size: 112
    .language:       OpenCL C
    .language_version:
      - 2
      - 0
    .max_flat_workgroup_size: 256
    .name:           fft_rtc_back_len128_factors_16_8_wgs_256_tpt_16_sp_op_CI_CI_sbcc
    .private_segment_fixed_size: 0
    .sgpr_count:     55
    .sgpr_spill_count: 0
    .symbol:         fft_rtc_back_len128_factors_16_8_wgs_256_tpt_16_sp_op_CI_CI_sbcc.kd
    .uniform_work_group_size: 1
    .uses_dynamic_stack: false
    .vgpr_count:     55
    .vgpr_spill_count: 0
    .wavefront_size: 64
amdhsa.target:   amdgcn-amd-amdhsa--gfx906
amdhsa.version:
  - 1
  - 2
...

	.end_amdgpu_metadata
